;; amdgpu-corpus repo=ROCm/rocFFT kind=compiled arch=gfx1030 opt=O3
	.text
	.amdgcn_target "amdgcn-amd-amdhsa--gfx1030"
	.amdhsa_code_object_version 6
	.protected	fft_rtc_back_len672_factors_2_2_2_2_2_3_7_wgs_56_tpt_56_halfLds_sp_ip_CI_unitstride_sbrr_dirReg ; -- Begin function fft_rtc_back_len672_factors_2_2_2_2_2_3_7_wgs_56_tpt_56_halfLds_sp_ip_CI_unitstride_sbrr_dirReg
	.globl	fft_rtc_back_len672_factors_2_2_2_2_2_3_7_wgs_56_tpt_56_halfLds_sp_ip_CI_unitstride_sbrr_dirReg
	.p2align	8
	.type	fft_rtc_back_len672_factors_2_2_2_2_2_3_7_wgs_56_tpt_56_halfLds_sp_ip_CI_unitstride_sbrr_dirReg,@function
fft_rtc_back_len672_factors_2_2_2_2_2_3_7_wgs_56_tpt_56_halfLds_sp_ip_CI_unitstride_sbrr_dirReg: ; @fft_rtc_back_len672_factors_2_2_2_2_2_3_7_wgs_56_tpt_56_halfLds_sp_ip_CI_unitstride_sbrr_dirReg
; %bb.0:
	s_clause 0x2
	s_load_dwordx4 s[8:11], s[4:5], 0x0
	s_load_dwordx2 s[2:3], s[4:5], 0x50
	s_load_dwordx2 s[12:13], s[4:5], 0x18
	v_mul_u32_u24_e32 v1, 0x493, v0
	v_mov_b32_e32 v3, 0
	v_add_nc_u32_sdwa v5, s6, v1 dst_sel:DWORD dst_unused:UNUSED_PAD src0_sel:DWORD src1_sel:WORD_1
	v_mov_b32_e32 v1, 0
	v_mov_b32_e32 v6, v3
	v_mov_b32_e32 v2, 0
	s_waitcnt lgkmcnt(0)
	v_cmp_lt_u64_e64 s0, s[10:11], 2
	s_and_b32 vcc_lo, exec_lo, s0
	s_cbranch_vccnz .LBB0_8
; %bb.1:
	s_load_dwordx2 s[0:1], s[4:5], 0x10
	v_mov_b32_e32 v1, 0
	s_add_u32 s6, s12, 8
	v_mov_b32_e32 v2, 0
	s_addc_u32 s7, s13, 0
	s_mov_b64 s[16:17], 1
	s_waitcnt lgkmcnt(0)
	s_add_u32 s14, s0, 8
	s_addc_u32 s15, s1, 0
.LBB0_2:                                ; =>This Inner Loop Header: Depth=1
	s_load_dwordx2 s[18:19], s[14:15], 0x0
                                        ; implicit-def: $vgpr7_vgpr8
	s_mov_b32 s0, exec_lo
	s_waitcnt lgkmcnt(0)
	v_or_b32_e32 v4, s19, v6
	v_cmpx_ne_u64_e32 0, v[3:4]
	s_xor_b32 s1, exec_lo, s0
	s_cbranch_execz .LBB0_4
; %bb.3:                                ;   in Loop: Header=BB0_2 Depth=1
	v_cvt_f32_u32_e32 v4, s18
	v_cvt_f32_u32_e32 v7, s19
	s_sub_u32 s0, 0, s18
	s_subb_u32 s20, 0, s19
	v_fmac_f32_e32 v4, 0x4f800000, v7
	v_rcp_f32_e32 v4, v4
	v_mul_f32_e32 v4, 0x5f7ffffc, v4
	v_mul_f32_e32 v7, 0x2f800000, v4
	v_trunc_f32_e32 v7, v7
	v_fmac_f32_e32 v4, 0xcf800000, v7
	v_cvt_u32_f32_e32 v7, v7
	v_cvt_u32_f32_e32 v4, v4
	v_mul_lo_u32 v8, s0, v7
	v_mul_hi_u32 v9, s0, v4
	v_mul_lo_u32 v10, s20, v4
	v_add_nc_u32_e32 v8, v9, v8
	v_mul_lo_u32 v9, s0, v4
	v_add_nc_u32_e32 v8, v8, v10
	v_mul_hi_u32 v10, v4, v9
	v_mul_lo_u32 v11, v4, v8
	v_mul_hi_u32 v12, v4, v8
	v_mul_hi_u32 v13, v7, v9
	v_mul_lo_u32 v9, v7, v9
	v_mul_hi_u32 v14, v7, v8
	v_mul_lo_u32 v8, v7, v8
	v_add_co_u32 v10, vcc_lo, v10, v11
	v_add_co_ci_u32_e32 v11, vcc_lo, 0, v12, vcc_lo
	v_add_co_u32 v9, vcc_lo, v10, v9
	v_add_co_ci_u32_e32 v9, vcc_lo, v11, v13, vcc_lo
	v_add_co_ci_u32_e32 v10, vcc_lo, 0, v14, vcc_lo
	v_add_co_u32 v8, vcc_lo, v9, v8
	v_add_co_ci_u32_e32 v9, vcc_lo, 0, v10, vcc_lo
	v_add_co_u32 v4, vcc_lo, v4, v8
	v_add_co_ci_u32_e32 v7, vcc_lo, v7, v9, vcc_lo
	v_mul_hi_u32 v8, s0, v4
	v_mul_lo_u32 v10, s20, v4
	v_mul_lo_u32 v9, s0, v7
	v_add_nc_u32_e32 v8, v8, v9
	v_mul_lo_u32 v9, s0, v4
	v_add_nc_u32_e32 v8, v8, v10
	v_mul_hi_u32 v10, v4, v9
	v_mul_lo_u32 v11, v4, v8
	v_mul_hi_u32 v12, v4, v8
	v_mul_hi_u32 v13, v7, v9
	v_mul_lo_u32 v9, v7, v9
	v_mul_hi_u32 v14, v7, v8
	v_mul_lo_u32 v8, v7, v8
	v_add_co_u32 v10, vcc_lo, v10, v11
	v_add_co_ci_u32_e32 v11, vcc_lo, 0, v12, vcc_lo
	v_add_co_u32 v9, vcc_lo, v10, v9
	v_add_co_ci_u32_e32 v9, vcc_lo, v11, v13, vcc_lo
	v_add_co_ci_u32_e32 v10, vcc_lo, 0, v14, vcc_lo
	v_add_co_u32 v8, vcc_lo, v9, v8
	v_add_co_ci_u32_e32 v9, vcc_lo, 0, v10, vcc_lo
	v_add_co_u32 v4, vcc_lo, v4, v8
	v_add_co_ci_u32_e32 v11, vcc_lo, v7, v9, vcc_lo
	v_mul_hi_u32 v13, v5, v4
	v_mad_u64_u32 v[9:10], null, v6, v4, 0
	v_mad_u64_u32 v[7:8], null, v5, v11, 0
	;; [unrolled: 1-line block ×3, first 2 shown]
	v_add_co_u32 v4, vcc_lo, v13, v7
	v_add_co_ci_u32_e32 v7, vcc_lo, 0, v8, vcc_lo
	v_add_co_u32 v4, vcc_lo, v4, v9
	v_add_co_ci_u32_e32 v4, vcc_lo, v7, v10, vcc_lo
	v_add_co_ci_u32_e32 v7, vcc_lo, 0, v12, vcc_lo
	v_add_co_u32 v4, vcc_lo, v4, v11
	v_add_co_ci_u32_e32 v9, vcc_lo, 0, v7, vcc_lo
	v_mul_lo_u32 v10, s19, v4
	v_mad_u64_u32 v[7:8], null, s18, v4, 0
	v_mul_lo_u32 v11, s18, v9
	v_sub_co_u32 v7, vcc_lo, v5, v7
	v_add3_u32 v8, v8, v11, v10
	v_sub_nc_u32_e32 v10, v6, v8
	v_subrev_co_ci_u32_e64 v10, s0, s19, v10, vcc_lo
	v_add_co_u32 v11, s0, v4, 2
	v_add_co_ci_u32_e64 v12, s0, 0, v9, s0
	v_sub_co_u32 v13, s0, v7, s18
	v_sub_co_ci_u32_e32 v8, vcc_lo, v6, v8, vcc_lo
	v_subrev_co_ci_u32_e64 v10, s0, 0, v10, s0
	v_cmp_le_u32_e32 vcc_lo, s18, v13
	v_cmp_eq_u32_e64 s0, s19, v8
	v_cndmask_b32_e64 v13, 0, -1, vcc_lo
	v_cmp_le_u32_e32 vcc_lo, s19, v10
	v_cndmask_b32_e64 v14, 0, -1, vcc_lo
	v_cmp_le_u32_e32 vcc_lo, s18, v7
	;; [unrolled: 2-line block ×3, first 2 shown]
	v_cndmask_b32_e64 v15, 0, -1, vcc_lo
	v_cmp_eq_u32_e32 vcc_lo, s19, v10
	v_cndmask_b32_e64 v7, v15, v7, s0
	v_cndmask_b32_e32 v10, v14, v13, vcc_lo
	v_add_co_u32 v13, vcc_lo, v4, 1
	v_add_co_ci_u32_e32 v14, vcc_lo, 0, v9, vcc_lo
	v_cmp_ne_u32_e32 vcc_lo, 0, v10
	v_cndmask_b32_e32 v8, v14, v12, vcc_lo
	v_cndmask_b32_e32 v10, v13, v11, vcc_lo
	v_cmp_ne_u32_e32 vcc_lo, 0, v7
	v_cndmask_b32_e32 v8, v9, v8, vcc_lo
	v_cndmask_b32_e32 v7, v4, v10, vcc_lo
.LBB0_4:                                ;   in Loop: Header=BB0_2 Depth=1
	s_andn2_saveexec_b32 s0, s1
	s_cbranch_execz .LBB0_6
; %bb.5:                                ;   in Loop: Header=BB0_2 Depth=1
	v_cvt_f32_u32_e32 v4, s18
	s_sub_i32 s1, 0, s18
	v_rcp_iflag_f32_e32 v4, v4
	v_mul_f32_e32 v4, 0x4f7ffffe, v4
	v_cvt_u32_f32_e32 v4, v4
	v_mul_lo_u32 v7, s1, v4
	v_mul_hi_u32 v7, v4, v7
	v_add_nc_u32_e32 v4, v4, v7
	v_mul_hi_u32 v4, v5, v4
	v_mul_lo_u32 v7, v4, s18
	v_add_nc_u32_e32 v8, 1, v4
	v_sub_nc_u32_e32 v7, v5, v7
	v_subrev_nc_u32_e32 v9, s18, v7
	v_cmp_le_u32_e32 vcc_lo, s18, v7
	v_cndmask_b32_e32 v7, v7, v9, vcc_lo
	v_cndmask_b32_e32 v4, v4, v8, vcc_lo
	v_cmp_le_u32_e32 vcc_lo, s18, v7
	v_add_nc_u32_e32 v8, 1, v4
	v_cndmask_b32_e32 v7, v4, v8, vcc_lo
	v_mov_b32_e32 v8, v3
.LBB0_6:                                ;   in Loop: Header=BB0_2 Depth=1
	s_or_b32 exec_lo, exec_lo, s0
	s_load_dwordx2 s[0:1], s[6:7], 0x0
	v_mul_lo_u32 v4, v8, s18
	v_mul_lo_u32 v11, v7, s19
	v_mad_u64_u32 v[9:10], null, v7, s18, 0
	s_add_u32 s16, s16, 1
	s_addc_u32 s17, s17, 0
	s_add_u32 s6, s6, 8
	s_addc_u32 s7, s7, 0
	;; [unrolled: 2-line block ×3, first 2 shown]
	v_add3_u32 v4, v10, v11, v4
	v_sub_co_u32 v5, vcc_lo, v5, v9
	v_sub_co_ci_u32_e32 v4, vcc_lo, v6, v4, vcc_lo
	s_waitcnt lgkmcnt(0)
	v_mul_lo_u32 v6, s1, v5
	v_mul_lo_u32 v4, s0, v4
	v_mad_u64_u32 v[1:2], null, s0, v5, v[1:2]
	v_cmp_ge_u64_e64 s0, s[16:17], s[10:11]
	s_and_b32 vcc_lo, exec_lo, s0
	v_add3_u32 v2, v6, v2, v4
	s_cbranch_vccnz .LBB0_9
; %bb.7:                                ;   in Loop: Header=BB0_2 Depth=1
	v_mov_b32_e32 v5, v7
	v_mov_b32_e32 v6, v8
	s_branch .LBB0_2
.LBB0_8:
	v_mov_b32_e32 v8, v6
	v_mov_b32_e32 v7, v5
.LBB0_9:
	s_lshl_b64 s[0:1], s[10:11], 3
	v_mul_hi_u32 v3, 0x4924925, v0
	s_add_u32 s0, s12, s0
	s_addc_u32 s1, s13, s1
	v_mov_b32_e32 v4, 0
	s_load_dwordx2 s[0:1], s[0:1], 0x0
	s_load_dwordx2 s[4:5], s[4:5], 0x20
	v_mov_b32_e32 v5, 0
                                        ; implicit-def: $vgpr27
                                        ; implicit-def: $vgpr23
                                        ; implicit-def: $vgpr19
                                        ; implicit-def: $vgpr15
                                        ; implicit-def: $vgpr25
                                        ; implicit-def: $vgpr21
	v_mul_u32_u24_e32 v3, 56, v3
	v_mov_b32_e32 v17, v5
	v_mov_b32_e32 v11, v5
	;; [unrolled: 1-line block ×3, first 2 shown]
	v_sub_nc_u32_e32 v0, v0, v3
	v_mov_b32_e32 v16, v4
	v_mov_b32_e32 v10, v4
	;; [unrolled: 1-line block ×3, first 2 shown]
	s_waitcnt lgkmcnt(0)
	v_mul_lo_u32 v6, s0, v8
	v_mul_lo_u32 v9, s1, v7
	v_mad_u64_u32 v[1:2], null, s0, v7, v[1:2]
	v_cmp_gt_u64_e32 vcc_lo, s[4:5], v[7:8]
	v_add3_u32 v2, v9, v2, v6
	v_mov_b32_e32 v9, v5
	v_mov_b32_e32 v7, v5
	v_mov_b32_e32 v8, v4
	v_mov_b32_e32 v6, v4
	v_lshlrev_b64 v[2:3], 3, v[1:2]
	s_and_saveexec_b32 s1, vcc_lo
	s_cbranch_execz .LBB0_11
; %bb.10:
	v_mov_b32_e32 v1, 0
	v_add_co_u32 v10, s0, s2, v2
	v_add_co_ci_u32_e64 v11, s0, s3, v3, s0
	v_lshlrev_b64 v[4:5], 3, v[0:1]
	v_or_b32_e32 v6, 0x1c0, v0
	v_mov_b32_e32 v7, v1
	v_add_co_u32 v8, s0, v10, v4
	v_add_co_ci_u32_e64 v9, s0, v11, v5, s0
	v_lshlrev_b64 v[4:5], 3, v[6:7]
	v_add_co_u32 v6, s0, 0x800, v8
	v_add_co_ci_u32_e64 v7, s0, 0, v9, s0
	v_add_co_u32 v22, s0, v10, v4
	v_add_co_ci_u32_e64 v23, s0, v11, v5, s0
	;; [unrolled: 2-line block ×3, first 2 shown]
	s_clause 0xb
	global_load_dwordx2 v[20:21], v[6:7], off offset:1088
	global_load_dwordx2 v[4:5], v[8:9], off
	global_load_dwordx2 v[16:17], v[8:9], off offset:448
	global_load_dwordx2 v[10:11], v[8:9], off offset:896
	;; [unrolled: 1-line block ×5, first 2 shown]
	global_load_dwordx2 v[24:25], v[22:23], off
	global_load_dwordx2 v[22:23], v[6:7], off offset:1984
	global_load_dwordx2 v[8:9], v[8:9], off offset:1792
	;; [unrolled: 1-line block ×4, first 2 shown]
.LBB0_11:
	s_or_b32 exec_lo, exec_lo, s1
	s_waitcnt vmcnt(9)
	v_sub_f32_e32 v34, v17, v21
	s_waitcnt vmcnt(3)
	v_sub_f32_e32 v21, v12, v22
	;; [unrolled: 2-line block ×3, first 2 shown]
	v_sub_f32_e32 v32, v16, v20
	s_waitcnt vmcnt(0)
	v_sub_f32_e32 v15, v7, v15
	v_fma_f32 v33, v17, 2.0, -v34
	v_sub_f32_e32 v17, v11, v25
	v_fma_f32 v20, v12, 2.0, -v21
	v_sub_f32_e32 v12, v6, v14
	v_sub_f32_e32 v28, v4, v26
	v_fma_f32 v29, v5, 2.0, -v30
	v_fma_f32 v31, v16, 2.0, -v32
	v_sub_f32_e32 v5, v10, v24
	v_fma_f32 v16, v11, 2.0, -v17
	v_add_nc_u32_e32 v36, 56, v0
	v_fma_f32 v11, v6, 2.0, -v12
	v_add_nc_u32_e32 v6, 0x70, v0
	v_fma_f32 v14, v7, 2.0, -v15
	v_add_nc_u32_e32 v7, 0xa8, v0
	v_fma_f32 v27, v4, 2.0, -v28
	v_sub_f32_e32 v23, v13, v23
	v_fma_f32 v4, v10, 2.0, -v5
	v_lshl_add_u32 v35, v0, 3, 0
	v_lshl_add_u32 v41, v36, 3, 0
	v_lshl_add_u32 v43, v6, 3, 0
	v_lshlrev_b32_e32 v1, 2, v0
	v_lshl_add_u32 v44, v7, 3, 0
	v_sub_f32_e32 v25, v8, v18
	v_fma_f32 v22, v13, 2.0, -v23
	ds_write_b64 v35, v[27:28]
	ds_write_b64 v41, v[31:32]
	v_add_nc_u32_e32 v42, 0xe0, v0
	v_add_nc_u32_e32 v13, 0x118, v0
	ds_write_b64 v43, v[4:5]
	ds_write_b64 v44, v[20:21]
	v_sub_nc_u32_e32 v1, v35, v1
	v_and_b32_e32 v20, 1, v0
	v_sub_f32_e32 v10, v9, v19
	v_fma_f32 v24, v8, 2.0, -v25
	v_lshl_add_u32 v45, v42, 3, 0
	v_lshl_add_u32 v46, v13, 3, 0
	v_add_nc_u32_e32 v21, 0x400, v1
	v_lshlrev_b32_e32 v4, 3, v20
	v_fma_f32 v9, v9, 2.0, -v10
	v_add_nc_u32_e32 v26, 0x200, v1
	v_add_nc_u32_e32 v8, 0x800, v1
	ds_write_b64 v45, v[24:25]
	ds_write_b64 v46, v[11:12]
	s_waitcnt lgkmcnt(0)
	s_barrier
	buffer_gl0_inv
	ds_read2_b32 v[18:19], v1 offset1:56
	ds_read2_b32 v[24:25], v21 offset0:80 offset1:136
	ds_read2_b32 v[27:28], v1 offset0:112 offset1:168
	;; [unrolled: 1-line block ×5, first 2 shown]
	s_waitcnt lgkmcnt(0)
	s_barrier
	buffer_gl0_inv
	ds_write_b64 v35, v[29:30]
	ds_write_b64 v41, v[33:34]
	;; [unrolled: 1-line block ×6, first 2 shown]
	s_waitcnt lgkmcnt(0)
	s_barrier
	buffer_gl0_inv
	global_load_dwordx2 v[14:15], v4, s[8:9]
	v_lshlrev_b32_e32 v4, 1, v0
	ds_read2_b32 v[16:17], v21 offset0:80 offset1:136
	v_lshlrev_b32_e32 v11, 1, v42
	v_lshlrev_b32_e32 v5, 1, v36
	;; [unrolled: 1-line block ×3, first 2 shown]
	v_and_or_b32 v22, 0x7c, v4, v20
	v_lshlrev_b32_e32 v10, 1, v7
	v_and_b32_e32 v35, 3, v0
	v_lshlrev_b32_e32 v12, 1, v13
	v_and_or_b32 v47, 0xfc, v5, v20
	v_lshl_add_u32 v46, v22, 2, 0
	ds_read2_b32 v[22:23], v21 offset0:192 offset1:248
	ds_read2_b32 v[29:30], v8 offset0:48 offset1:104
	ds_read2_b32 v[33:34], v1 offset1:56
	ds_read2_b32 v[41:42], v1 offset0:112 offset1:168
	ds_read2_b32 v[43:44], v26 offset0:96 offset1:152
	v_and_or_b32 v48, 0x1fc, v9, v20
	v_and_or_b32 v49, 0x1fc, v10, v20
	;; [unrolled: 1-line block ×3, first 2 shown]
	v_lshlrev_b32_e32 v45, 3, v35
	v_and_or_b32 v20, 0x2fc, v12, v20
	v_lshl_add_u32 v47, v47, 2, 0
	v_lshl_add_u32 v48, v48, 2, 0
	;; [unrolled: 1-line block ×4, first 2 shown]
	s_waitcnt vmcnt(0) lgkmcnt(0)
	s_barrier
	buffer_gl0_inv
	v_lshl_add_u32 v20, v20, 2, 0
	v_cmp_gt_u32_e64 s0, 40, v0
	v_mul_f32_e32 v51, v16, v15
	v_mul_f32_e32 v52, v24, v15
	;; [unrolled: 1-line block ×10, first 2 shown]
	v_fmac_f32_e32 v51, v24, v14
	v_mul_f32_e32 v24, v30, v15
	v_mul_f32_e32 v15, v40, v15
	v_fma_f32 v16, v16, v14, -v52
	v_fmac_f32_e32 v53, v25, v14
	v_fma_f32 v17, v17, v14, -v54
	v_fmac_f32_e32 v55, v31, v14
	;; [unrolled: 2-line block ×5, first 2 shown]
	v_fma_f32 v14, v30, v14, -v15
	v_sub_f32_e32 v15, v18, v51
	v_sub_f32_e32 v29, v33, v16
	;; [unrolled: 1-line block ×12, first 2 shown]
	v_fma_f32 v14, v18, 2.0, -v15
	v_fma_f32 v33, v33, 2.0, -v29
	;; [unrolled: 1-line block ×12, first 2 shown]
	ds_write2_b32 v46, v14, v15 offset1:2
	ds_write2_b32 v47, v18, v16 offset1:2
	;; [unrolled: 1-line block ×6, first 2 shown]
	s_waitcnt lgkmcnt(0)
	s_barrier
	buffer_gl0_inv
	ds_read2_b32 v[14:15], v1 offset1:56
	ds_read2_b32 v[16:17], v21 offset0:80 offset1:136
	ds_read2_b32 v[18:19], v1 offset0:112 offset1:168
	;; [unrolled: 1-line block ×5, first 2 shown]
	s_waitcnt lgkmcnt(0)
	s_barrier
	buffer_gl0_inv
	ds_write2_b32 v46, v33, v29 offset1:2
	ds_write2_b32 v47, v34, v30 offset1:2
	;; [unrolled: 1-line block ×6, first 2 shown]
	s_waitcnt lgkmcnt(0)
	s_barrier
	buffer_gl0_inv
	global_load_dwordx2 v[29:30], v45, s[8:9] offset:16
	v_and_or_b32 v33, 0x78, v4, v35
	ds_read2_b32 v[31:32], v21 offset0:80 offset1:136
	ds_read2_b32 v[37:38], v8 offset0:48 offset1:104
	v_and_or_b32 v39, 0xf8, v5, v35
	v_and_or_b32 v40, 0x1f8, v9, v35
	v_lshl_add_u32 v46, v33, 2, 0
	ds_read2_b32 v[33:34], v21 offset0:192 offset1:248
	v_and_or_b32 v41, 0x1f8, v10, v35
	v_and_or_b32 v42, 0x3f8, v11, v35
	v_lshl_add_u32 v47, v39, 2, 0
	v_lshl_add_u32 v48, v40, 2, 0
	v_and_b32_e32 v20, 7, v0
	v_lshl_add_u32 v49, v41, 2, 0
	v_lshl_add_u32 v50, v42, 2, 0
	ds_read2_b32 v[39:40], v1 offset1:56
	ds_read2_b32 v[41:42], v1 offset0:112 offset1:168
	ds_read2_b32 v[43:44], v26 offset0:96 offset1:152
	v_and_or_b32 v35, 0x2f8, v12, v35
	v_lshlrev_b32_e32 v45, 3, v20
	s_waitcnt vmcnt(0) lgkmcnt(0)
	s_barrier
	buffer_gl0_inv
	v_lshl_add_u32 v35, v35, 2, 0
	v_mul_f32_e32 v51, v31, v30
	v_mul_f32_e32 v52, v16, v30
	;; [unrolled: 1-line block ×10, first 2 shown]
	v_fmac_f32_e32 v51, v16, v29
	v_mul_f32_e32 v16, v38, v30
	v_fmac_f32_e32 v53, v17, v29
	v_mul_f32_e32 v17, v28, v30
	v_fma_f32 v30, v31, v29, -v52
	v_fma_f32 v31, v32, v29, -v54
	v_fmac_f32_e32 v55, v22, v29
	v_fma_f32 v22, v33, v29, -v56
	v_fmac_f32_e32 v57, v23, v29
	;; [unrolled: 2-line block ×4, first 2 shown]
	v_fma_f32 v17, v38, v29, -v17
	v_sub_f32_e32 v28, v14, v51
	v_sub_f32_e32 v29, v39, v30
	;; [unrolled: 1-line block ×12, first 2 shown]
	v_fma_f32 v14, v14, 2.0, -v28
	v_fma_f32 v39, v39, 2.0, -v29
	;; [unrolled: 1-line block ×12, first 2 shown]
	ds_write2_b32 v46, v14, v28 offset1:4
	ds_write2_b32 v47, v15, v30 offset1:4
	;; [unrolled: 1-line block ×6, first 2 shown]
	s_waitcnt lgkmcnt(0)
	s_barrier
	buffer_gl0_inv
	ds_read2_b32 v[14:15], v1 offset1:56
	ds_read2_b32 v[16:17], v21 offset0:80 offset1:136
	ds_read2_b32 v[18:19], v1 offset0:112 offset1:168
	;; [unrolled: 1-line block ×5, first 2 shown]
	s_waitcnt lgkmcnt(0)
	s_barrier
	buffer_gl0_inv
	ds_write2_b32 v46, v39, v29 offset1:4
	ds_write2_b32 v47, v40, v31 offset1:4
	;; [unrolled: 1-line block ×6, first 2 shown]
	s_waitcnt lgkmcnt(0)
	s_barrier
	buffer_gl0_inv
	global_load_dwordx2 v[29:30], v45, s[8:9] offset:48
	v_and_or_b32 v31, 0x70, v4, v20
	v_and_or_b32 v37, 0x1f0, v9, v20
	ds_read2_b32 v[33:34], v21 offset0:192 offset1:248
	v_and_or_b32 v39, 0x1f0, v10, v20
	v_and_or_b32 v40, 0x3f0, v11, v20
	v_lshl_add_u32 v49, v31, 2, 0
	ds_read2_b32 v[31:32], v21 offset0:80 offset1:136
	v_lshl_add_u32 v52, v37, 2, 0
	ds_read2_b32 v[37:38], v8 offset0:48 offset1:104
	v_lshl_add_u32 v53, v39, 2, 0
	v_lshl_add_u32 v54, v40, 2, 0
	ds_read2_b32 v[39:40], v1 offset1:56
	ds_read2_b32 v[41:42], v1 offset0:112 offset1:168
	ds_read2_b32 v[43:44], v26 offset0:96 offset1:152
	v_and_b32_e32 v47, 15, v13
	v_and_or_b32 v13, 0xf0, v5, v20
	v_and_or_b32 v20, 0x2f0, v12, v20
	v_and_b32_e32 v35, 15, v0
	v_and_b32_e32 v48, 15, v7
	v_lshlrev_b32_e32 v50, 3, v47
	v_lshl_add_u32 v51, v13, 2, 0
	v_lshl_add_u32 v55, v20, 2, 0
	v_lshlrev_b32_e32 v45, 3, v35
	v_and_b32_e32 v46, 15, v36
	s_waitcnt vmcnt(0) lgkmcnt(0)
	s_barrier
	buffer_gl0_inv
	v_and_or_b32 v4, 0x60, v4, v35
	v_and_or_b32 v9, 0x1e0, v9, v35
	v_and_or_b32 v12, 0x2e0, v12, v47
	v_and_or_b32 v11, 0x3e0, v11, v35
	v_lshl_add_u32 v47, v9, 2, 0
	v_mul_f32_e32 v13, v31, v30
	v_mul_f32_e32 v20, v16, v30
	;; [unrolled: 1-line block ×7, first 2 shown]
	v_fmac_f32_e32 v13, v16, v29
	v_mul_f32_e32 v16, v23, v30
	v_fmac_f32_e32 v56, v17, v29
	v_mul_f32_e32 v17, v37, v30
	v_fma_f32 v20, v31, v29, -v20
	v_fma_f32 v31, v32, v29, -v57
	v_mul_f32_e32 v32, v27, v30
	v_mul_f32_e32 v57, v38, v30
	v_fmac_f32_e32 v58, v22, v29
	v_mul_f32_e32 v22, v28, v30
	v_fmac_f32_e32 v60, v23, v29
	v_fma_f32 v23, v33, v29, -v59
	v_fma_f32 v16, v34, v29, -v16
	v_fmac_f32_e32 v17, v27, v29
	v_fma_f32 v27, v37, v29, -v32
	v_fmac_f32_e32 v57, v28, v29
	v_fma_f32 v22, v38, v29, -v22
	v_sub_f32_e32 v13, v14, v13
	v_sub_f32_e32 v28, v39, v20
	;; [unrolled: 1-line block ×12, first 2 shown]
	v_fma_f32 v14, v14, 2.0, -v13
	v_fma_f32 v34, v39, 2.0, -v28
	;; [unrolled: 1-line block ×12, first 2 shown]
	ds_write2_b32 v49, v14, v13 offset1:8
	ds_write2_b32 v51, v15, v20 offset1:8
	;; [unrolled: 1-line block ×6, first 2 shown]
	s_waitcnt lgkmcnt(0)
	s_barrier
	buffer_gl0_inv
	ds_read2_b32 v[13:14], v1 offset1:56
	ds_read2_b32 v[15:16], v21 offset0:80 offset1:136
	ds_read2_b32 v[17:18], v1 offset0:112 offset1:168
	;; [unrolled: 1-line block ×5, first 2 shown]
	s_waitcnt lgkmcnt(0)
	s_barrier
	buffer_gl0_inv
	ds_write2_b32 v49, v34, v28 offset1:8
	ds_write2_b32 v51, v37, v29 offset1:8
	;; [unrolled: 1-line block ×6, first 2 shown]
	s_waitcnt lgkmcnt(0)
	s_barrier
	buffer_gl0_inv
	s_clause 0x1
	global_load_dwordx2 v[27:28], v45, s[8:9] offset:112
	global_load_dwordx2 v[29:30], v50, s[8:9] offset:112
	v_lshlrev_b32_e32 v31, 3, v48
	v_lshlrev_b32_e32 v33, 3, v46
	s_clause 0x2
	global_load_dwordx2 v[31:32], v31, s[8:9] offset:112
	global_load_dword v41, v33, s[8:9] offset:112
	global_load_dword v42, v50, s[8:9] offset:116
	ds_read2_b32 v[33:34], v21 offset0:80 offset1:136
	v_lshl_add_u32 v49, v4, 2, 0
	v_and_or_b32 v37, 0xe0, v5, v46
	ds_read2_b32 v[4:5], v21 offset0:192 offset1:248
	v_and_or_b32 v38, 0x1e0, v10, v48
	ds_read2_b32 v[9:10], v8 offset0:48 offset1:104
	v_lshl_add_u32 v54, v11, 2, 0
	v_lshl_add_u32 v46, v37, 2, 0
	;; [unrolled: 1-line block ×4, first 2 shown]
	ds_read2_b32 v[11:12], v1 offset1:56
	ds_read2_b32 v[37:38], v1 offset0:112 offset1:168
	ds_read2_b32 v[39:40], v26 offset0:96 offset1:152
	v_and_b32_e32 v43, 31, v0
	v_and_b32_e32 v45, 31, v36
	;; [unrolled: 1-line block ×3, first 2 shown]
	s_waitcnt vmcnt(0) lgkmcnt(0)
	s_barrier
	v_lshlrev_b32_e32 v44, 4, v43
	v_lshlrev_b32_e32 v35, 4, v45
	buffer_gl0_inv
	v_lshrrev_b32_e32 v6, 5, v6
	v_mul_f32_e32 v50, v33, v28
	v_mul_f32_e32 v52, v34, v30
	;; [unrolled: 1-line block ×8, first 2 shown]
	v_fmac_f32_e32 v50, v15, v27
	v_fmac_f32_e32 v52, v16, v41
	v_mul_f32_e32 v15, v9, v28
	v_mul_f32_e32 v16, v24, v28
	v_fma_f32 v28, v34, v41, -v30
	v_mul_f32_e32 v30, v10, v42
	v_mul_f32_e32 v34, v25, v42
	v_fma_f32 v33, v33, v27, -v51
	v_fmac_f32_e32 v53, v19, v27
	v_fma_f32 v4, v4, v27, -v57
	v_fmac_f32_e32 v58, v20, v31
	;; [unrolled: 2-line block ×4, first 2 shown]
	v_fma_f32 v10, v10, v29, -v34
	v_sub_f32_e32 v16, v13, v50
	v_sub_f32_e32 v19, v11, v33
	;; [unrolled: 1-line block ×12, first 2 shown]
	v_fma_f32 v13, v13, 2.0, -v16
	v_fma_f32 v11, v11, 2.0, -v19
	;; [unrolled: 1-line block ×12, first 2 shown]
	ds_write2_b32 v49, v13, v16 offset1:16
	ds_write2_b32 v46, v14, v20 offset1:16
	;; [unrolled: 1-line block ×6, first 2 shown]
	s_waitcnt lgkmcnt(0)
	s_barrier
	buffer_gl0_inv
	ds_read2_b32 v[50:51], v1 offset1:56
	ds_read2_b32 v[31:32], v26 offset0:96 offset1:152
	ds_read2_b32 v[33:34], v21 offset0:192 offset1:248
	;; [unrolled: 1-line block ×5, first 2 shown]
	s_waitcnt lgkmcnt(0)
	s_barrier
	buffer_gl0_inv
	ds_write2_b32 v49, v11, v19 offset1:16
	ds_write2_b32 v46, v12, v24 offset1:16
	;; [unrolled: 1-line block ×6, first 2 shown]
	v_lshlrev_b32_e32 v9, 4, v56
	v_and_b32_e32 v14, 31, v7
	s_waitcnt lgkmcnt(0)
	s_barrier
	buffer_gl0_inv
	s_clause 0x2
	global_load_dwordx4 v[10:13], v44, s[8:9] offset:240
	global_load_dwordx4 v[15:18], v35, s[8:9] offset:240
	;; [unrolled: 1-line block ×3, first 2 shown]
	v_lshlrev_b32_e32 v9, 4, v14
	v_lshrrev_b32_e32 v19, 5, v36
	v_lshrrev_b32_e32 v20, 5, v7
	v_mul_u32_u24_e32 v27, 0x60, v6
	ds_read2_b32 v[6:7], v26 offset0:96 offset1:152
	global_load_dwordx4 v[46:49], v9, s[8:9] offset:240
	v_lshrrev_b32_e32 v9, 5, v0
	v_mul_u32_u24_e32 v19, 0x60, v19
	ds_read2_b32 v[54:55], v21 offset0:192 offset1:248
	v_mul_u32_u24_e32 v20, 0x60, v20
	v_or_b32_e32 v27, v27, v56
	v_mul_u32_u24_e32 v9, 0x60, v9
	v_or_b32_e32 v19, v19, v45
	ds_read2_b32 v[56:57], v21 offset0:80 offset1:136
	v_or_b32_e32 v14, v20, v14
	v_lshl_add_u32 v28, v27, 2, 0
	v_or_b32_e32 v9, v9, v43
	v_lshl_add_u32 v29, v19, 2, 0
	v_lshl_add_u32 v27, v14, 2, 0
	;; [unrolled: 1-line block ×3, first 2 shown]
	ds_read2_b32 v[58:59], v8 offset0:48 offset1:104
	ds_read2_b32 v[19:20], v1 offset1:56
	ds_read2_b32 v[8:9], v1 offset0:112 offset1:168
	s_waitcnt vmcnt(0) lgkmcnt(0)
	s_barrier
	buffer_gl0_inv
	v_mul_f32_e32 v40, v6, v11
	v_mul_f32_e32 v42, v54, v13
	;; [unrolled: 1-line block ×6, first 2 shown]
	v_fmac_f32_e32 v40, v31, v10
	v_mul_f32_e32 v31, v58, v25
	v_mul_f32_e32 v13, v33, v13
	;; [unrolled: 1-line block ×4, first 2 shown]
	v_fmac_f32_e32 v42, v33, v12
	v_mul_f32_e32 v18, v57, v47
	v_fmac_f32_e32 v35, v32, v15
	v_mul_f32_e32 v32, v59, v49
	;; [unrolled: 2-line block ×3, first 2 shown]
	v_fma_f32 v44, v6, v10, -v11
	v_mul_f32_e32 v6, v52, v25
	v_fmac_f32_e32 v14, v37, v22
	v_fmac_f32_e32 v31, v52, v24
	v_fma_f32 v41, v54, v12, -v13
	v_mul_f32_e32 v10, v38, v47
	v_mul_f32_e32 v11, v53, v49
	v_fma_f32 v45, v7, v15, -v16
	v_fmac_f32_e32 v18, v38, v46
	v_fmac_f32_e32 v32, v53, v48
	v_add_f32_e32 v7, v40, v42
	v_fma_f32 v43, v55, v17, -v43
	v_add_f32_e32 v12, v35, v39
	v_fma_f32 v15, v56, v22, -v23
	v_fma_f32 v33, v58, v24, -v6
	v_add_f32_e32 v17, v14, v31
	v_fma_f32 v38, v57, v46, -v10
	v_fma_f32 v34, v59, v48, -v11
	v_add_f32_e32 v6, v50, v40
	v_sub_f32_e32 v11, v44, v41
	v_add_f32_e32 v24, v18, v32
	v_fma_f32 v46, -0.5, v7, v50
	v_add_f32_e32 v10, v51, v35
	v_sub_f32_e32 v13, v45, v43
	v_add_f32_e32 v16, v4, v14
	v_fmac_f32_e32 v51, -0.5, v12
	v_sub_f32_e32 v22, v15, v33
	v_fma_f32 v7, -0.5, v17, v4
	v_add_f32_e32 v23, v5, v18
	v_sub_f32_e32 v25, v38, v34
	v_add_f32_e32 v37, v6, v42
	v_fmac_f32_e32 v5, -0.5, v24
	v_fmamk_f32 v4, v11, 0xbf5db3d7, v46
	v_fmac_f32_e32 v46, 0x3f5db3d7, v11
	v_add_f32_e32 v47, v10, v39
	v_add_f32_e32 v12, v16, v31
	v_fmamk_f32 v16, v13, 0xbf5db3d7, v51
	v_fmac_f32_e32 v51, 0x3f5db3d7, v13
	v_fmamk_f32 v6, v22, 0xbf5db3d7, v7
	v_add_f32_e32 v10, v23, v32
	v_fmac_f32_e32 v7, 0x3f5db3d7, v22
	v_fmamk_f32 v11, v25, 0xbf5db3d7, v5
	v_fmac_f32_e32 v5, 0x3f5db3d7, v25
	ds_write2_b32 v30, v37, v4 offset1:32
	ds_write_b32 v30, v46 offset:256
	ds_write2_b32 v29, v47, v16 offset1:32
	ds_write_b32 v29, v51 offset:256
	;; [unrolled: 2-line block ×4, first 2 shown]
	s_waitcnt lgkmcnt(0)
	s_barrier
	buffer_gl0_inv
	ds_read2_b32 v[16:17], v1 offset1:96
	ds_read2_b32 v[22:23], v26 offset0:64 offset1:160
	ds_read2_b32 v[24:25], v21 offset0:128 offset1:224
	ds_read_b32 v37, v1 offset:2304
                                        ; implicit-def: $vgpr4
                                        ; implicit-def: $vgpr13
	s_and_saveexec_b32 s1, s0
	s_cbranch_execz .LBB0_13
; %bb.12:
	v_add_nc_u32_e32 v4, 0x600, v1
	ds_read2_b32 v[12:13], v4 offset0:56 offset1:152
	ds_read2_b32 v[6:7], v1 offset0:56 offset1:152
	;; [unrolled: 1-line block ×3, first 2 shown]
	ds_read_b32 v4, v1 offset:2528
	s_waitcnt lgkmcnt(3)
	v_mov_b32_e32 v5, v12
.LBB0_13:
	s_or_b32 exec_lo, exec_lo, s1
	v_add_f32_e32 v12, v44, v41
	v_sub_f32_e32 v40, v40, v42
	v_add_f32_e32 v42, v45, v43
	v_add_f32_e32 v44, v19, v44
	v_sub_f32_e32 v35, v35, v39
	v_fma_f32 v12, -0.5, v12, v19
	v_add_f32_e32 v19, v20, v45
	v_fmac_f32_e32 v20, -0.5, v42
	v_add_f32_e32 v39, v44, v41
	s_waitcnt lgkmcnt(0)
	v_fmamk_f32 v41, v40, 0x3f5db3d7, v12
	v_fmac_f32_e32 v12, 0xbf5db3d7, v40
	v_add_f32_e32 v40, v19, v43
	v_add_f32_e32 v19, v15, v33
	v_fmamk_f32 v42, v35, 0x3f5db3d7, v20
	v_fmac_f32_e32 v20, 0xbf5db3d7, v35
	v_add_f32_e32 v35, v38, v34
	v_add_f32_e32 v43, v8, v15
	v_fma_f32 v15, -0.5, v19, v8
	v_sub_f32_e32 v8, v14, v31
	v_add_f32_e32 v19, v9, v38
	v_fmac_f32_e32 v9, -0.5, v35
	v_sub_f32_e32 v31, v18, v32
	v_add_f32_e32 v32, v43, v33
	v_fmamk_f32 v14, v8, 0x3f5db3d7, v15
	v_fmac_f32_e32 v15, 0xbf5db3d7, v8
	v_add_f32_e32 v18, v19, v34
	v_fmamk_f32 v19, v31, 0x3f5db3d7, v9
	v_fmac_f32_e32 v9, 0xbf5db3d7, v31
	s_barrier
	buffer_gl0_inv
	ds_write2_b32 v30, v39, v41 offset1:32
	ds_write_b32 v30, v12 offset:256
	ds_write2_b32 v29, v40, v42 offset1:32
	ds_write_b32 v29, v20 offset:256
	;; [unrolled: 2-line block ×4, first 2 shown]
	s_waitcnt lgkmcnt(0)
	s_barrier
	buffer_gl0_inv
	ds_read2_b32 v[30:31], v1 offset1:96
	ds_read2_b32 v[32:33], v26 offset0:64 offset1:160
	ds_read2_b32 v[34:35], v21 offset0:128 offset1:224
	ds_read_b32 v12, v1 offset:2304
                                        ; implicit-def: $vgpr8
                                        ; implicit-def: $vgpr21
	s_and_saveexec_b32 s1, s0
	s_cbranch_execz .LBB0_15
; %bb.14:
	v_add_nc_u32_e32 v8, 0x600, v1
	v_add_nc_u32_e32 v9, 0x200, v1
	ds_read2_b32 v[20:21], v8 offset0:56 offset1:152
	ds_read2_b32 v[14:15], v1 offset0:56 offset1:152
	;; [unrolled: 1-line block ×3, first 2 shown]
	ds_read_b32 v8, v1 offset:2528
	s_waitcnt lgkmcnt(3)
	v_mov_b32_e32 v9, v20
.LBB0_15:
	s_or_b32 exec_lo, exec_lo, s1
	s_and_saveexec_b32 s1, vcc_lo
	s_cbranch_execz .LBB0_18
; %bb.16:
	v_mul_u32_u24_e32 v1, 6, v0
	v_add_co_u32 v20, vcc_lo, s2, v2
	v_add_co_ci_u32_e32 v51, vcc_lo, s3, v3, vcc_lo
	v_lshlrev_b32_e32 v1, 3, v1
	v_or_b32_e32 v2, 0x180, v0
	s_clause 0x2
	global_load_dwordx4 v[38:41], v1, s[8:9] offset:752
	global_load_dwordx4 v[42:45], v1, s[8:9] offset:784
	;; [unrolled: 1-line block ×3, first 2 shown]
	v_mov_b32_e32 v1, 0
	v_lshlrev_b64 v[26:27], 3, v[0:1]
	v_mov_b32_e32 v3, v1
	v_lshlrev_b64 v[28:29], 3, v[2:3]
	v_add_co_u32 v26, vcc_lo, v20, v26
	v_add_co_ci_u32_e32 v27, vcc_lo, v51, v27, vcc_lo
	v_add_co_u32 v2, vcc_lo, 0x800, v26
	v_add_co_ci_u32_e32 v3, vcc_lo, 0, v27, vcc_lo
	;; [unrolled: 2-line block ×4, first 2 shown]
	s_waitcnt vmcnt(2)
	v_mul_f32_e32 v20, v17, v38
	s_waitcnt vmcnt(1) lgkmcnt(0)
	v_mul_f32_e32 v52, v12, v45
	s_waitcnt vmcnt(0)
	v_mul_f32_e32 v53, v34, v49
	v_mul_f32_e32 v55, v32, v41
	;; [unrolled: 1-line block ×10, first 2 shown]
	v_fmac_f32_e32 v20, v31, v39
	v_fmac_f32_e32 v52, v37, v44
	;; [unrolled: 1-line block ×5, first 2 shown]
	v_fma_f32 v12, v12, v44, -v45
	v_fma_f32 v17, v31, v38, -v17
	;; [unrolled: 1-line block ×4, first 2 shown]
	v_fmac_f32_e32 v54, v23, v46
	v_fma_f32 v22, v33, v46, -v47
	v_fma_f32 v23, v34, v48, -v49
	v_sub_f32_e32 v31, v20, v52
	v_add_f32_e32 v34, v17, v12
	v_add_f32_e32 v37, v25, v24
	v_add_f32_e32 v20, v20, v52
	v_add_f32_e32 v39, v55, v56
	v_sub_f32_e32 v32, v53, v54
	v_sub_f32_e32 v33, v55, v56
	v_add_f32_e32 v35, v23, v22
	v_add_f32_e32 v38, v53, v54
	v_sub_f32_e32 v12, v17, v12
	v_sub_f32_e32 v17, v23, v22
	;; [unrolled: 1-line block ×3, first 2 shown]
	v_add_f32_e32 v41, v34, v37
	v_add_f32_e32 v44, v20, v39
	v_sub_f32_e32 v23, v31, v32
	v_sub_f32_e32 v24, v32, v33
	v_add_f32_e32 v25, v32, v33
	v_sub_f32_e32 v32, v34, v35
	v_sub_f32_e32 v40, v35, v37
	;; [unrolled: 1-line block ×6, first 2 shown]
	v_add_f32_e32 v17, v17, v22
	v_sub_f32_e32 v33, v33, v31
	v_sub_f32_e32 v22, v22, v12
	v_add_f32_e32 v35, v35, v41
	v_add_f32_e32 v38, v38, v44
	v_sub_f32_e32 v34, v37, v34
	v_sub_f32_e32 v20, v39, v20
	v_mul_f32_e32 v24, 0x3f08b237, v24
	v_add_f32_e32 v25, v31, v25
	v_mul_f32_e32 v31, 0x3f4a47b2, v32
	v_mul_f32_e32 v37, 0x3d64c772, v40
	;; [unrolled: 1-line block ×5, first 2 shown]
	v_add_f32_e32 v12, v12, v17
	v_mul_f32_e32 v43, 0xbf5ff5aa, v33
	v_mul_f32_e32 v44, 0xbf5ff5aa, v22
	v_add_f32_e32 v17, v30, v35
	v_add_f32_e32 v16, v16, v38
	v_fmamk_f32 v46, v23, 0xbeae86e6, v24
	v_fmamk_f32 v32, v32, 0x3f4a47b2, v37
	;; [unrolled: 1-line block ×4, first 2 shown]
	v_fma_f32 v43, 0x3eae86e6, v23, -v43
	v_fma_f32 v23, 0xbf3bfb3b, v34, -v31
	;; [unrolled: 1-line block ×6, first 2 shown]
	v_fmamk_f32 v33, v35, 0xbf955555, v17
	v_fmamk_f32 v35, v38, 0xbf955555, v16
	v_fma_f32 v34, 0x3f3bfb3b, v34, -v37
	v_fma_f32 v20, 0x3f3bfb3b, v20, -v40
	v_fmac_f32_e32 v46, 0xbee1c552, v25
	v_fmac_f32_e32 v42, 0xbee1c552, v12
	;; [unrolled: 1-line block ×4, first 2 shown]
	v_add_f32_e32 v12, v32, v33
	v_add_f32_e32 v30, v30, v35
	v_fmac_f32_e32 v43, 0xbee1c552, v25
	v_add_f32_e32 v32, v23, v33
	v_add_f32_e32 v37, v31, v35
	v_fmac_f32_e32 v24, 0xbee1c552, v25
	v_add_f32_e32 v31, v34, v33
	v_add_f32_e32 v20, v20, v35
	v_sub_f32_e32 v35, v12, v46
	v_add_f32_e32 v34, v42, v30
	v_add_f32_e32 v23, v43, v32
	v_sub_f32_e32 v33, v32, v43
	v_add_f32_e32 v32, v39, v37
	global_store_dwordx2 v[26:27], v[16:17], off
	v_sub_f32_e32 v16, v30, v42
	v_sub_f32_e32 v25, v31, v24
	v_add_f32_e32 v31, v24, v31
	v_sub_f32_e32 v30, v20, v22
	v_add_f32_e32 v24, v22, v20
	;; [unrolled: 2-line block ×3, first 2 shown]
	global_store_dwordx2 v[26:27], v[34:35], off offset:768
	global_store_dwordx2 v[26:27], v[32:33], off offset:1536
	;; [unrolled: 1-line block ×3, first 2 shown]
	global_store_dwordx2 v[50:51], v[24:25], off
	global_store_dwordx2 v[2:3], v[22:23], off offset:1792
	global_store_dwordx2 v[28:29], v[16:17], off offset:512
	s_and_b32 exec_lo, exec_lo, s0
	s_cbranch_execz .LBB0_18
; %bb.17:
	v_subrev_nc_u32_e32 v0, 40, v0
	v_cndmask_b32_e64 v0, v0, v36, s0
	v_mul_i32_i24_e32 v0, 6, v0
	v_lshlrev_b64 v[0:1], 3, v[0:1]
	v_add_co_u32 v0, vcc_lo, s8, v0
	v_add_co_ci_u32_e32 v1, vcc_lo, s9, v1, vcc_lo
	s_clause 0x2
	global_load_dwordx4 v[22:25], v[0:1], off offset:752
	global_load_dwordx4 v[30:33], v[0:1], off offset:768
	global_load_dwordx4 v[34:37], v[0:1], off offset:784
	s_waitcnt vmcnt(2)
	v_mul_f32_e32 v0, v15, v23
	v_mul_f32_e32 v1, v7, v23
	v_mul_f32_e32 v12, v18, v25
	v_mul_f32_e32 v16, v10, v25
	s_waitcnt vmcnt(1)
	v_mul_f32_e32 v17, v19, v31
	v_mul_f32_e32 v20, v11, v31
	v_mul_f32_e32 v23, v9, v33
	v_mul_f32_e32 v25, v5, v33
	;; [unrolled: 5-line block ×3, first 2 shown]
	v_fmac_f32_e32 v0, v7, v22
	v_fma_f32 v1, v15, v22, -v1
	v_fmac_f32_e32 v12, v10, v24
	v_fma_f32 v7, v18, v24, -v16
	;; [unrolled: 2-line block ×6, first 2 shown]
	v_add_f32_e32 v9, v0, v35
	v_add_f32_e32 v11, v1, v4
	v_sub_f32_e32 v1, v1, v4
	v_add_f32_e32 v4, v12, v31
	v_add_f32_e32 v13, v7, v8
	v_sub_f32_e32 v0, v0, v35
	v_sub_f32_e32 v12, v12, v31
	;; [unrolled: 1-line block ×3, first 2 shown]
	v_add_f32_e32 v8, v17, v23
	v_add_f32_e32 v15, v10, v5
	v_sub_f32_e32 v16, v23, v17
	v_sub_f32_e32 v5, v5, v10
	v_add_f32_e32 v10, v4, v9
	v_add_f32_e32 v17, v13, v11
	v_sub_f32_e32 v18, v4, v9
	v_sub_f32_e32 v19, v13, v11
	v_sub_f32_e32 v9, v9, v8
	v_sub_f32_e32 v11, v11, v15
	v_sub_f32_e32 v4, v8, v4
	v_sub_f32_e32 v13, v15, v13
	v_add_f32_e32 v20, v16, v12
	v_add_f32_e32 v21, v5, v7
	v_sub_f32_e32 v22, v16, v12
	v_sub_f32_e32 v23, v5, v7
	;; [unrolled: 1-line block ×4, first 2 shown]
	v_add_f32_e32 v8, v8, v10
	v_add_f32_e32 v10, v15, v17
	v_sub_f32_e32 v16, v0, v16
	v_sub_f32_e32 v5, v1, v5
	v_add_f32_e32 v15, v20, v0
	v_add_f32_e32 v17, v21, v1
	v_mul_f32_e32 v9, 0x3f4a47b2, v9
	v_mul_f32_e32 v11, 0x3f4a47b2, v11
	;; [unrolled: 1-line block ×8, first 2 shown]
	v_add_f32_e32 v0, v6, v8
	v_add_f32_e32 v1, v14, v10
	v_fmamk_f32 v4, v4, 0x3d64c772, v9
	v_fmamk_f32 v6, v13, 0x3d64c772, v11
	v_fma_f32 v13, 0x3f3bfb3b, v18, -v20
	v_fma_f32 v14, 0x3f3bfb3b, v19, -v21
	;; [unrolled: 1-line block ×4, first 2 shown]
	v_fmamk_f32 v18, v16, 0xbeae86e6, v22
	v_fmamk_f32 v19, v5, 0xbeae86e6, v23
	v_fma_f32 v12, 0xbf5ff5aa, v12, -v22
	v_fma_f32 v20, 0xbf5ff5aa, v7, -v23
	;; [unrolled: 1-line block ×4, first 2 shown]
	v_fmamk_f32 v5, v8, 0xbf955555, v0
	v_fmamk_f32 v7, v10, 0xbf955555, v1
	v_fmac_f32_e32 v18, 0xbee1c552, v15
	v_fmac_f32_e32 v19, 0xbee1c552, v17
	;; [unrolled: 1-line block ×6, first 2 shown]
	v_add_f32_e32 v15, v4, v5
	v_add_f32_e32 v17, v6, v7
	;; [unrolled: 1-line block ×6, first 2 shown]
	global_store_dwordx2 v[26:27], v[0:1], off offset:448
	v_add_f32_e32 v0, v19, v15
	v_sub_f32_e32 v1, v17, v18
	v_add_f32_e32 v4, v21, v10
	v_sub_f32_e32 v5, v11, v16
	v_sub_f32_e32 v6, v8, v20
	v_add_f32_e32 v7, v12, v9
	v_add_f32_e32 v8, v20, v8
	v_sub_f32_e32 v9, v9, v12
	v_sub_f32_e32 v10, v10, v21
	v_add_f32_e32 v11, v16, v11
	v_sub_f32_e32 v12, v15, v19
	v_add_f32_e32 v13, v18, v17
	global_store_dwordx2 v[26:27], v[0:1], off offset:1216
	global_store_dwordx2 v[26:27], v[4:5], off offset:1984
	;; [unrolled: 1-line block ×6, first 2 shown]
.LBB0_18:
	s_endpgm
	.section	.rodata,"a",@progbits
	.p2align	6, 0x0
	.amdhsa_kernel fft_rtc_back_len672_factors_2_2_2_2_2_3_7_wgs_56_tpt_56_halfLds_sp_ip_CI_unitstride_sbrr_dirReg
		.amdhsa_group_segment_fixed_size 0
		.amdhsa_private_segment_fixed_size 0
		.amdhsa_kernarg_size 88
		.amdhsa_user_sgpr_count 6
		.amdhsa_user_sgpr_private_segment_buffer 1
		.amdhsa_user_sgpr_dispatch_ptr 0
		.amdhsa_user_sgpr_queue_ptr 0
		.amdhsa_user_sgpr_kernarg_segment_ptr 1
		.amdhsa_user_sgpr_dispatch_id 0
		.amdhsa_user_sgpr_flat_scratch_init 0
		.amdhsa_user_sgpr_private_segment_size 0
		.amdhsa_wavefront_size32 1
		.amdhsa_uses_dynamic_stack 0
		.amdhsa_system_sgpr_private_segment_wavefront_offset 0
		.amdhsa_system_sgpr_workgroup_id_x 1
		.amdhsa_system_sgpr_workgroup_id_y 0
		.amdhsa_system_sgpr_workgroup_id_z 0
		.amdhsa_system_sgpr_workgroup_info 0
		.amdhsa_system_vgpr_workitem_id 0
		.amdhsa_next_free_vgpr 61
		.amdhsa_next_free_sgpr 21
		.amdhsa_reserve_vcc 1
		.amdhsa_reserve_flat_scratch 0
		.amdhsa_float_round_mode_32 0
		.amdhsa_float_round_mode_16_64 0
		.amdhsa_float_denorm_mode_32 3
		.amdhsa_float_denorm_mode_16_64 3
		.amdhsa_dx10_clamp 1
		.amdhsa_ieee_mode 1
		.amdhsa_fp16_overflow 0
		.amdhsa_workgroup_processor_mode 1
		.amdhsa_memory_ordered 1
		.amdhsa_forward_progress 0
		.amdhsa_shared_vgpr_count 0
		.amdhsa_exception_fp_ieee_invalid_op 0
		.amdhsa_exception_fp_denorm_src 0
		.amdhsa_exception_fp_ieee_div_zero 0
		.amdhsa_exception_fp_ieee_overflow 0
		.amdhsa_exception_fp_ieee_underflow 0
		.amdhsa_exception_fp_ieee_inexact 0
		.amdhsa_exception_int_div_zero 0
	.end_amdhsa_kernel
	.text
.Lfunc_end0:
	.size	fft_rtc_back_len672_factors_2_2_2_2_2_3_7_wgs_56_tpt_56_halfLds_sp_ip_CI_unitstride_sbrr_dirReg, .Lfunc_end0-fft_rtc_back_len672_factors_2_2_2_2_2_3_7_wgs_56_tpt_56_halfLds_sp_ip_CI_unitstride_sbrr_dirReg
                                        ; -- End function
	.section	.AMDGPU.csdata,"",@progbits
; Kernel info:
; codeLenInByte = 7188
; NumSgprs: 23
; NumVgprs: 61
; ScratchSize: 0
; MemoryBound: 0
; FloatMode: 240
; IeeeMode: 1
; LDSByteSize: 0 bytes/workgroup (compile time only)
; SGPRBlocks: 2
; VGPRBlocks: 7
; NumSGPRsForWavesPerEU: 23
; NumVGPRsForWavesPerEU: 61
; Occupancy: 16
; WaveLimiterHint : 1
; COMPUTE_PGM_RSRC2:SCRATCH_EN: 0
; COMPUTE_PGM_RSRC2:USER_SGPR: 6
; COMPUTE_PGM_RSRC2:TRAP_HANDLER: 0
; COMPUTE_PGM_RSRC2:TGID_X_EN: 1
; COMPUTE_PGM_RSRC2:TGID_Y_EN: 0
; COMPUTE_PGM_RSRC2:TGID_Z_EN: 0
; COMPUTE_PGM_RSRC2:TIDIG_COMP_CNT: 0
	.text
	.p2alignl 6, 3214868480
	.fill 48, 4, 3214868480
	.type	__hip_cuid_2373163bf9a2dbe,@object ; @__hip_cuid_2373163bf9a2dbe
	.section	.bss,"aw",@nobits
	.globl	__hip_cuid_2373163bf9a2dbe
__hip_cuid_2373163bf9a2dbe:
	.byte	0                               ; 0x0
	.size	__hip_cuid_2373163bf9a2dbe, 1

	.ident	"AMD clang version 19.0.0git (https://github.com/RadeonOpenCompute/llvm-project roc-6.4.0 25133 c7fe45cf4b819c5991fe208aaa96edf142730f1d)"
	.section	".note.GNU-stack","",@progbits
	.addrsig
	.addrsig_sym __hip_cuid_2373163bf9a2dbe
	.amdgpu_metadata
---
amdhsa.kernels:
  - .args:
      - .actual_access:  read_only
        .address_space:  global
        .offset:         0
        .size:           8
        .value_kind:     global_buffer
      - .offset:         8
        .size:           8
        .value_kind:     by_value
      - .actual_access:  read_only
        .address_space:  global
        .offset:         16
        .size:           8
        .value_kind:     global_buffer
      - .actual_access:  read_only
        .address_space:  global
        .offset:         24
        .size:           8
        .value_kind:     global_buffer
      - .offset:         32
        .size:           8
        .value_kind:     by_value
      - .actual_access:  read_only
        .address_space:  global
        .offset:         40
        .size:           8
        .value_kind:     global_buffer
      - .actual_access:  read_only
        .address_space:  global
        .offset:         48
        .size:           8
        .value_kind:     global_buffer
      - .offset:         56
        .size:           4
        .value_kind:     by_value
      - .actual_access:  read_only
        .address_space:  global
        .offset:         64
        .size:           8
        .value_kind:     global_buffer
      - .actual_access:  read_only
        .address_space:  global
        .offset:         72
        .size:           8
        .value_kind:     global_buffer
      - .address_space:  global
        .offset:         80
        .size:           8
        .value_kind:     global_buffer
    .group_segment_fixed_size: 0
    .kernarg_segment_align: 8
    .kernarg_segment_size: 88
    .language:       OpenCL C
    .language_version:
      - 2
      - 0
    .max_flat_workgroup_size: 56
    .name:           fft_rtc_back_len672_factors_2_2_2_2_2_3_7_wgs_56_tpt_56_halfLds_sp_ip_CI_unitstride_sbrr_dirReg
    .private_segment_fixed_size: 0
    .sgpr_count:     23
    .sgpr_spill_count: 0
    .symbol:         fft_rtc_back_len672_factors_2_2_2_2_2_3_7_wgs_56_tpt_56_halfLds_sp_ip_CI_unitstride_sbrr_dirReg.kd
    .uniform_work_group_size: 1
    .uses_dynamic_stack: false
    .vgpr_count:     61
    .vgpr_spill_count: 0
    .wavefront_size: 32
    .workgroup_processor_mode: 1
amdhsa.target:   amdgcn-amd-amdhsa--gfx1030
amdhsa.version:
  - 1
  - 2
...

	.end_amdgpu_metadata
